;; amdgpu-corpus repo=ROCm/rocFFT kind=compiled arch=gfx906 opt=O3
	.text
	.amdgcn_target "amdgcn-amd-amdhsa--gfx906"
	.amdhsa_code_object_version 6
	.protected	fft_rtc_back_len60_factors_3_4_5_wgs_190_tpt_5_halfLds_dim2_sp_ip_CI_sbcc_twdbase8_3step_dirReg_intrinsicReadWrite ; -- Begin function fft_rtc_back_len60_factors_3_4_5_wgs_190_tpt_5_halfLds_dim2_sp_ip_CI_sbcc_twdbase8_3step_dirReg_intrinsicReadWrite
	.globl	fft_rtc_back_len60_factors_3_4_5_wgs_190_tpt_5_halfLds_dim2_sp_ip_CI_sbcc_twdbase8_3step_dirReg_intrinsicReadWrite
	.p2align	8
	.type	fft_rtc_back_len60_factors_3_4_5_wgs_190_tpt_5_halfLds_dim2_sp_ip_CI_sbcc_twdbase8_3step_dirReg_intrinsicReadWrite,@function
fft_rtc_back_len60_factors_3_4_5_wgs_190_tpt_5_halfLds_dim2_sp_ip_CI_sbcc_twdbase8_3step_dirReg_intrinsicReadWrite: ; @fft_rtc_back_len60_factors_3_4_5_wgs_190_tpt_5_halfLds_dim2_sp_ip_CI_sbcc_twdbase8_3step_dirReg_intrinsicReadWrite
; %bb.0:
	s_load_dwordx4 s[0:3], s[4:5], 0x10
	s_mov_b32 s7, 0
	s_waitcnt lgkmcnt(0)
	s_load_dwordx2 s[10:11], s[0:1], 0x8
	s_load_dwordx2 s[14:15], s[4:5], 0x0
	;; [unrolled: 1-line block ×4, first 2 shown]
	s_waitcnt lgkmcnt(0)
	s_add_u32 s0, s10, -1
	s_addc_u32 s1, s11, -1
	s_add_u32 s13, 0, 0x286b7a80
	s_addc_u32 s16, 0, 23
	s_add_i32 s16, s16, 0x6bca198
	s_mul_hi_u32 s20, s13, 0xffffffda
	s_sub_i32 s20, s20, s13
	s_mul_i32 s21, s16, 0xffffffda
	s_mul_i32 s17, s13, 0xffffffda
	s_add_i32 s20, s20, s21
	s_mul_hi_u32 s18, s16, s17
	s_mul_i32 s19, s16, s17
	s_mul_i32 s22, s13, s20
	s_mul_hi_u32 s17, s13, s17
	s_mul_hi_u32 s21, s13, s20
	s_add_u32 s17, s17, s22
	s_addc_u32 s21, 0, s21
	s_add_u32 s17, s17, s19
	s_mul_hi_u32 s22, s16, s20
	s_addc_u32 s17, s21, s18
	s_addc_u32 s18, s22, 0
	s_mul_i32 s19, s16, s20
	s_add_u32 s17, s17, s19
	v_mov_b32_e32 v1, s17
	s_addc_u32 s18, 0, s18
	v_add_co_u32_e32 v1, vcc, s13, v1
	s_cmp_lg_u64 vcc, 0
	s_addc_u32 s13, s16, s18
	v_readfirstlane_b32 s18, v1
	s_mul_i32 s17, s0, s13
	s_mul_hi_u32 s19, s0, s18
	s_mul_hi_u32 s16, s0, s13
	s_add_u32 s17, s19, s17
	s_addc_u32 s16, 0, s16
	s_mul_hi_u32 s20, s1, s18
	s_mul_i32 s18, s1, s18
	s_add_u32 s17, s17, s18
	s_mul_hi_u32 s19, s1, s13
	s_addc_u32 s16, s16, s20
	s_addc_u32 s17, s19, 0
	s_mul_i32 s13, s1, s13
	s_add_u32 s13, s16, s13
	s_addc_u32 s16, 0, s17
	s_add_u32 s17, s13, 1
	s_addc_u32 s18, s16, 0
	s_add_u32 s19, s13, 2
	s_mul_i32 s21, s16, 38
	s_mul_hi_u32 s22, s13, 38
	s_addc_u32 s20, s16, 0
	s_add_i32 s22, s22, s21
	s_mul_i32 s21, s13, 38
	v_mov_b32_e32 v1, s21
	v_sub_co_u32_e32 v1, vcc, s0, v1
	s_cmp_lg_u64 vcc, 0
	s_subb_u32 s0, s1, s22
	v_subrev_co_u32_e32 v2, vcc, 38, v1
	s_cmp_lg_u64 vcc, 0
	s_subb_u32 s1, s0, 0
	v_readfirstlane_b32 s21, v2
	s_cmp_gt_u32 s21, 37
	s_cselect_b32 s21, -1, 0
	s_cmp_eq_u32 s1, 0
	s_cselect_b32 s1, s21, -1
	s_cmp_lg_u32 s1, 0
	s_cselect_b32 s1, s19, s17
	s_cselect_b32 s17, s20, s18
	v_readfirstlane_b32 s18, v1
	s_cmp_gt_u32 s18, 37
	s_cselect_b32 s18, -1, 0
	s_cmp_eq_u32 s0, 0
	s_cselect_b32 s0, s18, -1
	s_cmp_lg_u32 s0, 0
	s_cselect_b32 s0, s1, s13
	s_cselect_b32 s16, s17, s16
	s_add_u32 s0, s0, 1
	s_addc_u32 s1, s16, 0
	v_mov_b32_e32 v2, s1
	v_mov_b32_e32 v1, s0
	v_cmp_lt_u64_e32 vcc, s[6:7], v[1:2]
	s_mov_b64 s[16:17], 0
	s_cbranch_vccnz .LBB0_2
; %bb.1:
	v_cvt_f32_u32_e32 v1, s0
	s_sub_i32 s7, 0, s0
	v_rcp_iflag_f32_e32 v1, v1
	v_mul_f32_e32 v1, 0x4f7ffffe, v1
	v_cvt_u32_f32_e32 v1, v1
	v_readfirstlane_b32 s13, v1
	s_mul_i32 s7, s7, s13
	s_mul_hi_u32 s7, s13, s7
	s_add_i32 s13, s13, s7
	s_mul_hi_u32 s7, s6, s13
	s_mul_i32 s16, s7, s0
	s_sub_i32 s16, s6, s16
	s_add_i32 s13, s7, 1
	s_sub_i32 s17, s16, s0
	s_cmp_ge_u32 s16, s0
	s_cselect_b32 s7, s13, s7
	s_cselect_b32 s16, s17, s16
	s_add_i32 s13, s7, 1
	s_cmp_ge_u32 s16, s0
	s_cselect_b32 s16, s13, s7
.LBB0_2:
	s_mul_i32 s1, s16, s1
	s_mul_hi_u32 s7, s16, s0
	s_add_i32 s7, s7, s1
	s_mul_i32 s0, s16, s0
	s_sub_u32 s6, s6, s0
	s_load_dwordx4 s[0:3], s[2:3], 0x8
	v_mul_u32_u24_e32 v1, 0x6bd, v0
	s_subb_u32 s7, 0, s7
	s_waitcnt lgkmcnt(0)
	s_mul_i32 s3, s6, 38
	v_lshrrev_b32_e32 v25, 16, v1
	s_mul_i32 s7, s7, 38
	s_mul_hi_u32 s1, s6, 38
	s_mul_i32 s6, s3, s0
	s_mul_i32 s2, s2, s16
	v_mul_lo_u16_e32 v1, 38, v25
	s_add_i32 s1, s1, s7
	s_add_i32 s6, s2, s6
	v_sub_u16_e32 v17, v0, v1
	v_mov_b32_e32 v1, s1
	v_add_co_u32_e32 v15, vcc, s3, v17
	s_add_u32 s2, s3, 38
	v_addc_co_u32_e32 v16, vcc, 0, v1, vcc
	s_addc_u32 s3, s1, 0
	v_mad_u64_u32 v[13:14], s[0:1], s0, v17, 0
	v_mov_b32_e32 v1, s10
	v_mul_lo_u32 v3, s12, v25
	v_mov_b32_e32 v2, s11
	v_add_u32_e32 v14, 5, v25
	v_cmp_le_u64_e64 s[0:1], s[2:3], v[1:2]
	v_mul_lo_u32 v2, s12, v14
	v_cmp_gt_u64_e32 vcc, s[10:11], v[15:16]
	v_add_lshl_u32 v1, v13, v3, 3
	s_or_b64 s[2:3], s[0:1], vcc
	v_cndmask_b32_e64 v16, -1, v1, s[2:3]
	v_add_lshl_u32 v1, v13, v2, 3
	v_add_u32_e32 v2, 25, v25
	v_mul_lo_u32 v3, s12, v2
	v_add_u32_e32 v2, 45, v25
	v_mul_lo_u32 v4, s12, v2
	s_lshl_b32 s13, s6, 3
	v_add_lshl_u32 v3, v13, v3, 3
	v_cndmask_b32_e64 v7, -1, v3, s[2:3]
	v_add_lshl_u32 v3, v13, v4, 3
	s_mov_b32 s11, 0x20000
	s_mov_b32 s10, -2
	v_cndmask_b32_e64 v1, -1, v1, s[2:3]
	v_cndmask_b32_e64 v8, -1, v3, s[2:3]
	buffer_load_dwordx2 v[1:2], v1, s[8:11], s13 offen
	s_nop 0
	buffer_load_dwordx2 v[3:4], v7, s[8:11], s13 offen
	buffer_load_dwordx2 v[5:6], v8, s[8:11], s13 offen
	v_or_b32_e32 v8, 40, v25
	v_add_u32_e32 v7, 20, v25
	v_mul_lo_u32 v8, s12, v8
	v_mul_lo_u32 v7, s12, v7
	v_add_u32_e32 v26, 10, v25
	v_add_u32_e32 v9, 30, v25
	v_add_lshl_u32 v8, v13, v8, 3
	v_add_lshl_u32 v7, v13, v7, 3
	v_cndmask_b32_e64 v19, -1, v8, s[2:3]
	v_mul_lo_u32 v20, s12, v26
	v_cndmask_b32_e64 v18, -1, v7, s[2:3]
	v_mul_lo_u32 v21, s12, v9
	buffer_load_dwordx2 v[7:8], v16, s[8:11], s13 offen
	buffer_load_dwordx2 v[9:10], v18, s[8:11], s13 offen
	;; [unrolled: 1-line block ×3, first 2 shown]
	v_add_u32_e32 v19, 50, v25
	v_mul_lo_u32 v23, s12, v19
	v_add_u32_e32 v27, 15, v25
	v_add_lshl_u32 v16, v13, v20, 3
	v_mul_lo_u32 v24, s12, v27
	v_add_lshl_u32 v18, v13, v21, 3
	v_cndmask_b32_e64 v16, -1, v16, s[2:3]
	v_cndmask_b32_e64 v18, -1, v18, s[2:3]
	buffer_load_dwordx2 v[19:20], v16, s[8:11], s13 offen
	buffer_load_dwordx2 v[21:22], v18, s[8:11], s13 offen
	v_add_lshl_u32 v16, v13, v23, 3
	v_cndmask_b32_e64 v16, -1, v16, s[2:3]
	v_add_u32_e32 v23, 35, v25
	v_add_u32_e32 v29, 55, v25
	v_add_lshl_u32 v18, v13, v24, 3
	v_mul_lo_u32 v28, s12, v23
	buffer_load_dwordx2 v[23:24], v16, s[8:11], s13 offen
	v_mul_lo_u32 v16, s12, v29
	v_cndmask_b32_e64 v18, -1, v18, s[2:3]
	v_add_lshl_u32 v28, v13, v28, 3
	v_cndmask_b32_e64 v30, -1, v28, s[2:3]
	v_add_lshl_u32 v16, v13, v16, 3
	v_cndmask_b32_e64 v16, -1, v16, s[2:3]
	buffer_load_dwordx2 v[28:29], v18, s[8:11], s13 offen
	buffer_load_dwordx2 v[31:32], v30, s[8:11], s13 offen
	buffer_load_dwordx2 v[33:34], v16, s[8:11], s13 offen
	v_mul_u32_u24_e32 v16, 0x1c8, v25
	v_lshlrev_b32_e32 v40, 2, v17
	v_add3_u32 v39, 0, v16, v40
	v_add_u32_e32 v41, 0x800, v39
	v_add_u32_e32 v42, 0x1000, v39
	s_movk_i32 s7, 0x1ab8
	v_add_u32_e32 v43, 0x1800, v39
	s_movk_i32 s6, 0xfed0
	v_mul_lo_u16_e32 v54, 0x56, v26
	s_waitcnt vmcnt(10)
	v_add_f32_e32 v16, v1, v3
	s_waitcnt vmcnt(9)
	v_add_f32_e32 v17, v3, v5
	v_fma_f32 v1, -0.5, v17, v1
	v_sub_f32_e32 v3, v3, v5
	v_add_f32_e32 v5, v16, v5
	v_sub_f32_e32 v18, v4, v6
	v_add_f32_e32 v30, v2, v4
	v_add_f32_e32 v4, v4, v6
	;; [unrolled: 1-line block ×3, first 2 shown]
	v_fmac_f32_e32 v2, -0.5, v4
	v_mul_i32_i24_e32 v4, 0xfffffed0, v27
	v_add3_u32 v44, v39, s7, v4
	s_movk_i32 s7, 0x8e8
	s_waitcnt vmcnt(7)
	v_add_f32_e32 v35, v7, v9
	s_waitcnt vmcnt(6)
	v_add_f32_e32 v36, v9, v11
	v_fma_f32 v7, -0.5, v36, v7
	v_sub_f32_e32 v37, v10, v12
	v_mov_b32_e32 v17, v7
	v_add_f32_e32 v16, v35, v11
	v_fmac_f32_e32 v17, 0xbf5db3d7, v37
	ds_write2_b32 v39, v16, v17 offset1:38
	v_mov_b32_e32 v16, v1
	v_fmac_f32_e32 v16, 0xbf5db3d7, v18
	ds_write2_b32 v41, v5, v16 offset0:58 offset1:96
	s_waitcnt vmcnt(4)
	v_add_f32_e32 v5, v19, v21
	v_fmac_f32_e32 v7, 0x3f5db3d7, v37
	v_fmac_f32_e32 v1, 0x3f5db3d7, v18
	v_mul_i32_i24_e32 v4, 0xfffffed0, v14
	v_mad_i32_i24 v27, v25, s6, v39
	v_add_u32_e32 v45, 0x1100, v27
	s_waitcnt vmcnt(3)
	v_add_f32_e32 v16, v21, v23
	v_fma_f32 v16, -0.5, v16, v19
	v_sub_f32_e32 v17, v22, v24
	v_mov_b32_e32 v19, v16
	v_add_f32_e32 v5, v5, v23
	v_fmac_f32_e32 v19, 0xbf5db3d7, v17
	ds_write2_b32 v42, v5, v19 offset0:116 offset1:154
	s_waitcnt vmcnt(0)
	v_add_f32_e32 v19, v31, v33
	v_fma_f32 v19, -0.5, v19, v28
	v_add_f32_e32 v5, v28, v31
	v_sub_f32_e32 v28, v32, v34
	v_mov_b32_e32 v30, v19
	v_add_f32_e32 v5, v5, v33
	v_fmac_f32_e32 v30, 0xbf5db3d7, v28
	ds_write2_b32 v43, v5, v30 offset0:174 offset1:212
	v_fmac_f32_e32 v16, 0x3f5db3d7, v17
	v_fmac_f32_e32 v19, 0x3f5db3d7, v28
	ds_write_b32 v39, v7 offset:304
	ds_write_b32 v39, v1 offset:2584
	;; [unrolled: 1-line block ×4, first 2 shown]
	v_mov_b32_e32 v1, v2
	v_add3_u32 v30, v39, s7, v4
	s_movk_i32 s7, 0x11d0
	v_mul_i32_i24_e32 v4, 0xfffffed0, v26
	v_fmac_f32_e32 v1, 0x3f5db3d7, v3
	v_add3_u32 v28, v39, s7, v4
	v_add_f32_e32 v4, v22, v24
	s_waitcnt lgkmcnt(0)
	s_barrier
	v_add_u32_e32 v46, 0x1700, v27
	ds_read_b32 v47, v27
	ds_read_b32 v48, v30
	v_add_u32_e32 v49, 0xb00, v27
	v_add_u32_e32 v50, 0x1d00, v27
	ds_read_b32 v51, v44
	ds_read_b32 v52, v28
	ds_read2_b32 v[18:19], v45 offset0:52 offset1:242
	ds_read2_b32 v[16:17], v46 offset0:48 offset1:238
	;; [unrolled: 1-line block ×4, first 2 shown]
	s_waitcnt lgkmcnt(0)
	s_barrier
	ds_write2_b32 v41, v6, v1 offset0:58 offset1:96
	v_add_f32_e32 v1, v20, v22
	v_fmac_f32_e32 v20, -0.5, v4
	v_sub_f32_e32 v5, v21, v23
	v_mov_b32_e32 v4, v20
	v_add_f32_e32 v1, v1, v24
	v_fmac_f32_e32 v4, 0x3f5db3d7, v5
	ds_write2_b32 v42, v1, v4 offset0:116 offset1:154
	v_add_f32_e32 v4, v32, v34
	v_add_f32_e32 v1, v29, v32
	v_fmac_f32_e32 v29, -0.5, v4
	v_sub_f32_e32 v6, v31, v33
	v_mov_b32_e32 v4, v29
	v_add_f32_e32 v1, v1, v34
	v_fmac_f32_e32 v4, 0x3f5db3d7, v6
	ds_write2_b32 v43, v1, v4 offset0:174 offset1:212
	v_add_f32_e32 v4, v10, v12
	v_add_f32_e32 v1, v8, v10
	v_fmac_f32_e32 v8, -0.5, v4
	v_sub_f32_e32 v7, v9, v11
	v_mov_b32_e32 v4, v8
	v_add_f32_e32 v1, v1, v12
	v_fmac_f32_e32 v4, 0x3f5db3d7, v7
	v_fmac_f32_e32 v29, 0xbf5db3d7, v6
	ds_write2_b32 v39, v1, v4 offset1:38
	v_fmac_f32_e32 v2, 0xbf5db3d7, v3
	ds_write_b32 v39, v29 offset:7144
	v_mov_b32_e32 v1, 3
	v_mul_lo_u16_e32 v29, 0x56, v14
	ds_write_b32 v39, v2 offset:2584
	v_mul_lo_u16_sdwa v2, v29, v1 dst_sel:DWORD dst_unused:UNUSED_PAD src0_sel:BYTE_1 src1_sel:DWORD
	v_sub_u16_e32 v53, v14, v2
	v_mul_u32_u24_sdwa v2, v53, v1 dst_sel:DWORD dst_unused:UNUSED_PAD src0_sel:BYTE_0 src1_sel:DWORD
	v_lshlrev_b32_e32 v24, 3, v2
	v_mul_lo_u16_sdwa v2, v54, v1 dst_sel:DWORD dst_unused:UNUSED_PAD src0_sel:BYTE_1 src1_sel:DWORD
	v_sub_u16_e32 v55, v26, v2
	v_mul_u32_u24_sdwa v2, v55, v1 dst_sel:DWORD dst_unused:UNUSED_PAD src0_sel:BYTE_0 src1_sel:DWORD
	v_fmac_f32_e32 v8, 0xbf5db3d7, v7
	v_fmac_f32_e32 v20, 0xbf5db3d7, v5
	v_lshlrev_b32_e32 v33, 3, v2
	ds_write_b32 v39, v8 offset:304
	ds_write_b32 v39, v20 offset:4864
	s_waitcnt lgkmcnt(0)
	s_barrier
	global_load_dwordx2 v[20:21], v24, s[14:15] offset:16
	global_load_dwordx2 v[22:23], v33, s[14:15] offset:16
	v_mul_lo_u16_e32 v39, 0x56, v25
	v_mul_lo_u16_sdwa v2, v39, v1 dst_sel:DWORD dst_unused:UNUSED_PAD src0_sel:BYTE_1 src1_sel:DWORD
	v_sub_u16_e32 v41, v25, v2
	v_mul_lo_u16_e32 v2, 3, v41
	v_lshlrev_b32_sdwa v34, v1, v2 dst_sel:DWORD dst_unused:UNUSED_PAD src0_sel:DWORD src1_sel:BYTE_0
	global_load_dwordx2 v[31:32], v34, s[14:15] offset:16
	global_load_dwordx4 v[1:4], v24, s[14:15]
	global_load_dwordx4 v[5:8], v33, s[14:15]
	;; [unrolled: 1-line block ×3, first 2 shown]
	ds_read2_b32 v[33:34], v50 offset0:44 offset1:234
	s_movk_i32 s6, 0x98
	s_waitcnt vmcnt(5) lgkmcnt(0)
	v_mul_f32_e32 v50, v33, v21
	v_mul_f32_e32 v21, v37, v21
	s_waitcnt vmcnt(4)
	v_mul_f32_e32 v56, v34, v23
	v_mul_f32_e32 v23, v38, v23
	v_fmac_f32_e32 v50, v37, v20
	v_fma_f32 v33, v33, v20, -v21
	ds_read2_b32 v[20:21], v46 offset0:48 offset1:238
	v_fmac_f32_e32 v56, v38, v22
	v_fma_f32 v34, v34, v22, -v23
	ds_read2_b32 v[22:23], v49 offset0:56 offset1:246
	s_waitcnt vmcnt(3) lgkmcnt(1)
	v_mul_f32_e32 v38, v21, v32
	v_fmac_f32_e32 v38, v17, v31
	v_mul_f32_e32 v17, v17, v32
	s_waitcnt vmcnt(2) lgkmcnt(0)
	v_mul_f32_e32 v46, v22, v2
	v_fmac_f32_e32 v46, v35, v1
	s_waitcnt vmcnt(1)
	v_mul_f32_e32 v57, v23, v6
	v_mul_f32_e32 v2, v35, v2
	ds_read_b32 v35, v44
	ds_read_b32 v32, v28
	v_mul_f32_e32 v6, v36, v6
	v_fma_f32 v21, v21, v31, -v17
	v_fma_f32 v17, v23, v5, -v6
	ds_read2_b32 v[23:24], v45 offset0:52 offset1:242
	v_fma_f32 v31, v22, v1, -v2
	s_waitcnt vmcnt(0)
	v_mul_f32_e32 v2, v51, v10
	s_waitcnt lgkmcnt(2)
	v_fma_f32 v37, v35, v9, -v2
	v_mov_b32_e32 v2, 12
	v_fmac_f32_e32 v57, v36, v5
	v_mul_f32_e32 v1, v35, v10
	v_mul_lo_u16_sdwa v5, v39, v2 dst_sel:DWORD dst_unused:UNUSED_PAD src0_sel:BYTE_1 src1_sel:DWORD
	s_waitcnt lgkmcnt(0)
	v_mul_f32_e32 v6, v23, v12
	v_fmac_f32_e32 v1, v51, v9
	v_or_b32_e32 v5, v5, v41
	v_fmac_f32_e32 v6, v18, v11
	v_sub_f32_e32 v6, v47, v6
	v_sub_f32_e32 v41, v1, v38
	v_mul_u32_u24_sdwa v5, v5, s6 dst_sel:DWORD dst_unused:UNUSED_PAD src0_sel:BYTE_0 src1_sel:DWORD
	v_fma_f32 v9, v47, 2.0, -v6
	v_sub_f32_e32 v42, v37, v21
	v_fma_f32 v1, v1, 2.0, -v41
	v_add3_u32 v38, 0, v5, v40
	v_sub_f32_e32 v1, v9, v1
	v_add_f32_e32 v10, v6, v42
	v_add_u32_e32 v39, 0x200, v38
	v_fma_f32 v9, v9, 2.0, -v1
	ds_read_b32 v44, v27
	ds_read_b32 v43, v30
	s_waitcnt lgkmcnt(0)
	s_barrier
	ds_write2_b32 v39, v1, v10 offset0:100 offset1:214
	v_mul_u32_u24_sdwa v1, v29, v2 dst_sel:DWORD dst_unused:UNUSED_PAD src0_sel:BYTE_1 src1_sel:DWORD
	v_or_b32_sdwa v1, v1, v53 dst_sel:DWORD dst_unused:UNUSED_PAD src0_sel:DWORD src1_sel:BYTE_0
	v_mul_u32_u24_e32 v1, 0x98, v1
	v_mul_f32_e32 v5, v24, v4
	v_add3_u32 v45, 0, v1, v40
	v_mul_u32_u24_sdwa v1, v54, v2 dst_sel:DWORD dst_unused:UNUSED_PAD src0_sel:BYTE_1 src1_sel:DWORD
	v_fmac_f32_e32 v5, v19, v3
	v_or_b32_sdwa v1, v1, v55 dst_sel:DWORD dst_unused:UNUSED_PAD src0_sel:DWORD src1_sel:BYTE_0
	v_fma_f32 v6, v6, 2.0, -v10
	v_sub_f32_e32 v5, v48, v5
	v_mul_u32_u24_e32 v1, 0x98, v1
	ds_write2_b32 v38, v9, v6 offset1:114
	v_fma_f32 v6, v48, 2.0, -v5
	v_sub_f32_e32 v49, v46, v50
	v_add3_u32 v48, 0, v1, v40
	v_mul_f32_e32 v1, v20, v8
	v_sub_f32_e32 v50, v31, v33
	v_fma_f32 v9, v46, 2.0, -v49
	v_fmac_f32_e32 v1, v16, v7
	v_sub_f32_e32 v9, v6, v9
	v_add_f32_e32 v10, v5, v50
	v_sub_f32_e32 v1, v52, v1
	v_fma_f32 v6, v6, 2.0, -v9
	v_fma_f32 v5, v5, 2.0, -v10
	;; [unrolled: 1-line block ×3, first 2 shown]
	v_sub_f32_e32 v52, v57, v56
	ds_write2_b32 v45, v6, v5 offset1:114
	v_sub_f32_e32 v53, v17, v34
	v_fma_f32 v5, v57, 2.0, -v52
	v_sub_f32_e32 v29, v2, v5
	v_add_f32_e32 v33, v1, v53
	v_add_u32_e32 v47, 0x200, v45
	v_fma_f32 v2, v2, 2.0, -v29
	v_fma_f32 v1, v1, 2.0, -v33
	v_add_u32_e32 v51, 0x200, v48
	ds_write2_b32 v47, v9, v10 offset0:100 offset1:214
	ds_write2_b32 v48, v2, v1 offset1:114
	ds_write2_b32 v51, v29, v33 offset0:100 offset1:214
	s_waitcnt lgkmcnt(0)
	s_barrier
	v_add_u32_e32 v54, 0x700, v27
	v_add_u32_e32 v55, 0xe00, v27
	;; [unrolled: 1-line block ×4, first 2 shown]
	ds_read_b32 v46, v27
	ds_read_b32 v40, v30
                                        ; implicit-def: $vgpr34
                                        ; implicit-def: $vgpr35
                                        ; implicit-def: $vgpr36
	ds_read2_b32 v[21:22], v54 offset0:8 offset1:198
	ds_read2_b32 v[9:10], v55 offset0:16 offset1:206
	;; [unrolled: 1-line block ×4, first 2 shown]
	s_movk_i32 s6, 0x4c
	v_cmp_gt_u32_e64 s[6:7], s6, v0
	s_and_saveexec_b64 s[10:11], s[6:7]
	s_cbranch_execz .LBB0_4
; %bb.3:
	ds_read_b32 v33, v27 offset:3344
	ds_read_b32 v36, v27 offset:5168
	;; [unrolled: 1-line block ×3, first 2 shown]
	ds_read_b32 v29, v28
	ds_read_b32 v34, v27 offset:8816
.LBB0_4:
	s_or_b64 exec, exec, s[10:11]
	v_mul_f32_e32 v4, v19, v4
	v_fma_f32 v3, v24, v3, -v4
	v_mul_f32_e32 v4, v16, v8
	v_mul_f32_e32 v12, v18, v12
	v_fma_f32 v4, v20, v7, -v4
	v_fma_f32 v11, v23, v11, -v12
	v_sub_f32_e32 v4, v32, v4
	v_sub_f32_e32 v7, v44, v11
	;; [unrolled: 1-line block ×3, first 2 shown]
	v_fma_f32 v19, v32, 2.0, -v4
	v_fma_f32 v17, v17, 2.0, -v53
	v_fma_f32 v8, v44, 2.0, -v7
	v_fma_f32 v11, v37, 2.0, -v42
	v_fma_f32 v16, v43, 2.0, -v3
	v_fma_f32 v18, v31, 2.0, -v50
	v_sub_f32_e32 v31, v19, v17
	v_sub_f32_e32 v11, v8, v11
	;; [unrolled: 1-line block ×5, first 2 shown]
	v_fma_f32 v17, v19, 2.0, -v31
	v_sub_f32_e32 v19, v4, v52
	v_fma_f32 v8, v8, 2.0, -v11
	v_fma_f32 v7, v7, 2.0, -v12
	;; [unrolled: 1-line block ×5, first 2 shown]
	s_waitcnt lgkmcnt(0)
	s_barrier
	ds_write2_b32 v38, v8, v7 offset1:114
	ds_write2_b32 v39, v11, v12 offset0:100 offset1:214
	ds_write2_b32 v45, v16, v3 offset1:114
	ds_write2_b32 v47, v18, v20 offset0:100 offset1:214
	;; [unrolled: 2-line block ×3, first 2 shown]
	s_waitcnt lgkmcnt(0)
	s_barrier
	ds_read2_b32 v[16:17], v54 offset0:8 offset1:198
	ds_read2_b32 v[11:12], v55 offset0:16 offset1:206
	;; [unrolled: 1-line block ×4, first 2 shown]
	ds_read_b32 v18, v27
	ds_read_b32 v23, v30
                                        ; implicit-def: $vgpr20
                                        ; implicit-def: $vgpr37
                                        ; implicit-def: $vgpr38
	s_and_saveexec_b64 s[10:11], s[6:7]
	s_cbranch_execz .LBB0_6
; %bb.5:
	ds_read_b32 v19, v27 offset:3344
	ds_read_b32 v38, v27 offset:5168
	;; [unrolled: 1-line block ×3, first 2 shown]
	ds_read_b32 v31, v28
	ds_read_b32 v20, v27 offset:8816
.LBB0_6:
	s_or_b64 exec, exec, s[10:11]
	v_and_b32_e32 v30, 0xffff, v25
	v_lshlrev_b32_e32 v24, 5, v30
	global_load_dwordx4 v[41:44], v24, s[14:15] offset:88
	global_load_dwordx4 v[47:50], v24, s[14:15] offset:72
	v_mul_lo_u16_e32 v27, 22, v14
	s_load_dwordx2 s[4:5], s[4:5], 0x8
	s_mov_b32 s11, 0x20000
	s_mov_b32 s10, -2
	s_waitcnt vmcnt(1) lgkmcnt(0)
	v_mul_f32_e32 v51, v3, v44
	v_fmac_f32_e32 v51, v1, v43
	v_mul_f32_e32 v1, v1, v44
	v_fma_f32 v52, v3, v43, -v1
	v_mov_b32_e32 v1, 12
	s_waitcnt vmcnt(0)
	v_mul_f32_e32 v25, v16, v48
	v_mul_lo_u16_sdwa v1, v27, v1 dst_sel:DWORD dst_unused:UNUSED_PAD src0_sel:BYTE_1 src1_sel:DWORD
	v_fmac_f32_e32 v25, v21, v47
	v_mul_f32_e32 v21, v21, v48
	v_sub_u16_e32 v1, v14, v1
	v_fma_f32 v16, v16, v47, -v21
	v_mul_f32_e32 v21, v11, v50
	v_mul_f32_e32 v39, v7, v42
	v_and_b32_e32 v24, 0xff, v1
	v_fmac_f32_e32 v21, v9, v49
	v_mul_f32_e32 v9, v9, v50
	v_fmac_f32_e32 v39, v5, v41
	v_mul_f32_e32 v5, v5, v42
	v_lshlrev_b32_e32 v1, 5, v24
	v_fma_f32 v9, v11, v49, -v9
	v_fma_f32 v45, v7, v41, -v5
	global_load_dwordx4 v[41:44], v1, s[14:15] offset:88
	global_load_dwordx4 v[47:50], v1, s[14:15] offset:72
	v_sub_f32_e32 v11, v39, v51
	s_waitcnt vmcnt(0)
	v_mul_f32_e32 v53, v17, v48
	v_mul_f32_e32 v1, v22, v48
	v_fmac_f32_e32 v53, v22, v47
	v_fma_f32 v22, v17, v47, -v1
	v_mul_f32_e32 v54, v12, v50
	v_mul_f32_e32 v1, v10, v50
	v_fmac_f32_e32 v54, v10, v49
	v_fma_f32 v49, v12, v49, -v1
	;; [unrolled: 4-line block ×4, first 2 shown]
	v_mul_lo_u16_e32 v1, 22, v26
	v_lshrrev_b16_e32 v28, 8, v1
	v_mul_lo_u16_e32 v1, 12, v28
	v_sub_u16_e32 v1, v26, v1
	v_and_b32_e32 v32, 0xff, v1
	v_lshlrev_b32_e32 v10, 5, v32
	global_load_dwordx4 v[1:4], v10, s[14:15] offset:88
	global_load_dwordx4 v[5:8], v10, s[14:15] offset:72
	v_sub_f32_e32 v12, v25, v51
	v_sub_f32_e32 v17, v21, v39
	s_waitcnt vmcnt(0)
	v_mul_f32_e32 v44, v19, v6
	v_mul_f32_e32 v6, v33, v6
	;; [unrolled: 1-line block ×3, first 2 shown]
	v_fmac_f32_e32 v44, v33, v5
	v_fma_f32 v55, v19, v5, -v6
	v_fmac_f32_e32 v56, v36, v7
	v_mul_f32_e32 v5, v36, v8
	v_mul_f32_e32 v36, v37, v2
	;; [unrolled: 1-line block ×3, first 2 shown]
	v_fma_f32 v8, v38, v7, -v5
	v_fmac_f32_e32 v36, v35, v1
	v_fma_f32 v1, v37, v1, -v2
	v_mul_f32_e32 v38, v20, v4
	v_mul_f32_e32 v2, v34, v4
	v_fmac_f32_e32 v38, v34, v3
	v_fma_f32 v57, v20, v3, -v2
	v_add_f32_e32 v3, v21, v39
	v_fma_f32 v10, -0.5, v3, v46
	v_sub_f32_e32 v3, v16, v52
	v_mov_b32_e32 v4, v10
	v_fmac_f32_e32 v4, 0xbf737871, v3
	v_sub_f32_e32 v5, v9, v45
	v_sub_f32_e32 v6, v25, v21
	;; [unrolled: 1-line block ×3, first 2 shown]
	v_fmac_f32_e32 v10, 0x3f737871, v3
	v_fmac_f32_e32 v4, 0xbf167918, v5
	v_add_f32_e32 v6, v6, v7
	v_fmac_f32_e32 v10, 0x3f167918, v5
	v_fmac_f32_e32 v4, 0x3e9e377a, v6
	;; [unrolled: 1-line block ×3, first 2 shown]
	v_add_f32_e32 v6, v25, v51
	v_add_f32_e32 v2, v46, v25
	v_fmac_f32_e32 v46, -0.5, v6
	v_mov_b32_e32 v6, v46
	v_fmac_f32_e32 v6, 0x3f737871, v5
	v_sub_f32_e32 v7, v21, v25
	v_fmac_f32_e32 v46, 0xbf737871, v5
	v_add_f32_e32 v5, v9, v45
	v_add_f32_e32 v7, v7, v11
	v_fma_f32 v11, -0.5, v5, v18
	v_fmac_f32_e32 v6, 0xbf167918, v3
	v_fmac_f32_e32 v46, 0x3f167918, v3
	v_mov_b32_e32 v5, v11
	v_fmac_f32_e32 v6, 0x3e9e377a, v7
	v_fmac_f32_e32 v46, 0x3e9e377a, v7
	;; [unrolled: 1-line block ×3, first 2 shown]
	v_sub_f32_e32 v7, v16, v9
	v_sub_f32_e32 v19, v52, v45
	v_fmac_f32_e32 v11, 0xbf737871, v12
	v_fmac_f32_e32 v5, 0x3f167918, v17
	v_add_f32_e32 v7, v7, v19
	v_fmac_f32_e32 v11, 0xbf167918, v17
	v_fmac_f32_e32 v5, 0x3e9e377a, v7
	;; [unrolled: 1-line block ×3, first 2 shown]
	v_add_f32_e32 v7, v16, v52
	v_add_f32_e32 v3, v18, v16
	v_fmac_f32_e32 v18, -0.5, v7
	v_mov_b32_e32 v7, v18
	v_add_f32_e32 v3, v3, v9
	v_fmac_f32_e32 v7, 0xbf737871, v17
	v_sub_f32_e32 v9, v9, v16
	v_sub_f32_e32 v16, v45, v52
	v_fmac_f32_e32 v18, 0x3f737871, v17
	v_fmac_f32_e32 v7, 0x3f167918, v12
	v_add_f32_e32 v9, v9, v16
	v_fmac_f32_e32 v18, 0xbf167918, v12
	v_fmac_f32_e32 v7, 0x3e9e377a, v9
	;; [unrolled: 1-line block ×3, first 2 shown]
	v_add_f32_e32 v9, v40, v53
	v_add_f32_e32 v9, v9, v54
	;; [unrolled: 1-line block ×5, first 2 shown]
	v_fma_f32 v47, -0.5, v9, v40
	v_sub_f32_e32 v9, v22, v43
	v_mov_b32_e32 v17, v47
	v_fmac_f32_e32 v17, 0xbf737871, v9
	v_sub_f32_e32 v16, v49, v41
	v_sub_f32_e32 v19, v53, v54
	;; [unrolled: 1-line block ×3, first 2 shown]
	v_fmac_f32_e32 v47, 0x3f737871, v9
	v_fmac_f32_e32 v17, 0xbf167918, v16
	v_add_f32_e32 v19, v19, v20
	v_fmac_f32_e32 v47, 0x3f167918, v16
	v_fmac_f32_e32 v17, 0x3e9e377a, v19
	;; [unrolled: 1-line block ×3, first 2 shown]
	v_add_f32_e32 v19, v53, v42
	v_fmac_f32_e32 v40, -0.5, v19
	v_mov_b32_e32 v19, v40
	v_fmac_f32_e32 v19, 0x3f737871, v16
	v_fmac_f32_e32 v40, 0xbf737871, v16
	;; [unrolled: 1-line block ×4, first 2 shown]
	v_add_f32_e32 v9, v23, v22
	v_add_f32_e32 v9, v9, v49
	;; [unrolled: 1-line block ×6, first 2 shown]
	v_sub_f32_e32 v20, v54, v53
	v_sub_f32_e32 v21, v50, v42
	v_fma_f32 v48, -0.5, v9, v23
	v_add_f32_e32 v20, v20, v21
	v_sub_f32_e32 v9, v53, v42
	v_mov_b32_e32 v21, v48
	v_fmac_f32_e32 v19, 0x3e9e377a, v20
	v_fmac_f32_e32 v40, 0x3e9e377a, v20
	;; [unrolled: 1-line block ×3, first 2 shown]
	v_sub_f32_e32 v25, v54, v50
	v_sub_f32_e32 v20, v22, v49
	;; [unrolled: 1-line block ×3, first 2 shown]
	v_fmac_f32_e32 v48, 0xbf737871, v9
	v_fmac_f32_e32 v21, 0x3f167918, v25
	v_add_f32_e32 v20, v20, v33
	v_fmac_f32_e32 v48, 0xbf167918, v25
	v_fmac_f32_e32 v21, 0x3e9e377a, v20
	;; [unrolled: 1-line block ×3, first 2 shown]
	v_add_f32_e32 v20, v22, v43
	v_fmac_f32_e32 v23, -0.5, v20
	v_mov_b32_e32 v20, v23
	v_fmac_f32_e32 v20, 0xbf737871, v25
	v_fmac_f32_e32 v23, 0x3f737871, v25
	;; [unrolled: 1-line block ×4, first 2 shown]
	v_add_f32_e32 v9, v29, v44
	v_add_f32_e32 v9, v9, v56
	;; [unrolled: 1-line block ×3, first 2 shown]
	v_sub_f32_e32 v22, v49, v22
	v_sub_f32_e32 v33, v41, v43
	v_add_f32_e32 v25, v9, v38
	v_add_f32_e32 v9, v56, v36
	;; [unrolled: 1-line block ×3, first 2 shown]
	v_fma_f32 v33, -0.5, v9, v29
	v_sub_f32_e32 v9, v55, v57
	v_mov_b32_e32 v37, v33
	v_fmac_f32_e32 v20, 0x3e9e377a, v22
	v_fmac_f32_e32 v23, 0x3e9e377a, v22
	;; [unrolled: 1-line block ×3, first 2 shown]
	v_sub_f32_e32 v22, v8, v1
	v_sub_f32_e32 v34, v44, v56
	;; [unrolled: 1-line block ×3, first 2 shown]
	v_fmac_f32_e32 v33, 0x3f737871, v9
	v_fmac_f32_e32 v37, 0xbf167918, v22
	v_add_f32_e32 v34, v34, v35
	v_fmac_f32_e32 v33, 0x3f167918, v22
	v_fmac_f32_e32 v37, 0x3e9e377a, v34
	;; [unrolled: 1-line block ×3, first 2 shown]
	v_add_f32_e32 v34, v44, v38
	v_fmac_f32_e32 v29, -0.5, v34
	v_mov_b32_e32 v35, v29
	v_fmac_f32_e32 v35, 0x3f737871, v22
	v_fmac_f32_e32 v29, 0xbf737871, v22
	;; [unrolled: 1-line block ×4, first 2 shown]
	v_add_f32_e32 v9, v31, v55
	v_add_f32_e32 v9, v9, v8
	v_add_f32_e32 v2, v2, v39
	v_sub_f32_e32 v34, v56, v44
	v_sub_f32_e32 v39, v36, v38
	v_add_f32_e32 v9, v9, v1
	v_add_f32_e32 v34, v34, v39
	;; [unrolled: 1-line block ×4, first 2 shown]
	v_fmac_f32_e32 v35, 0x3e9e377a, v34
	v_fmac_f32_e32 v29, 0x3e9e377a, v34
	v_fma_f32 v34, -0.5, v9, v31
	v_sub_f32_e32 v9, v44, v38
	v_mov_b32_e32 v38, v34
	v_fmac_f32_e32 v38, 0x3f737871, v9
	v_sub_f32_e32 v22, v56, v36
	v_sub_f32_e32 v36, v55, v8
	;; [unrolled: 1-line block ×3, first 2 shown]
	v_fmac_f32_e32 v34, 0xbf737871, v9
	v_fmac_f32_e32 v38, 0x3f167918, v22
	v_add_f32_e32 v36, v36, v41
	v_fmac_f32_e32 v34, 0xbf167918, v22
	v_fmac_f32_e32 v38, 0x3e9e377a, v36
	;; [unrolled: 1-line block ×3, first 2 shown]
	v_add_f32_e32 v36, v55, v57
	v_fmac_f32_e32 v31, -0.5, v36
	v_mov_b32_e32 v36, v31
	v_fmac_f32_e32 v36, 0xbf737871, v22
	v_sub_f32_e32 v8, v8, v55
	v_sub_f32_e32 v1, v1, v57
	v_fmac_f32_e32 v31, 0x3f737871, v22
	v_fmac_f32_e32 v36, 0x3f167918, v9
	v_add_f32_e32 v1, v8, v1
	v_fmac_f32_e32 v31, 0xbf167918, v9
	v_fmac_f32_e32 v36, 0x3e9e377a, v1
	;; [unrolled: 1-line block ×3, first 2 shown]
	v_mul_lo_u32 v1, v15, v30
	v_mov_b32_e32 v42, 3
	v_add_f32_e32 v3, v3, v45
	v_add_f32_e32 v3, v3, v52
	v_lshlrev_b32_sdwa v8, v42, v1 dst_sel:DWORD dst_unused:UNUSED_PAD src0_sel:DWORD src1_sel:BYTE_0
	v_lshlrev_b32_sdwa v22, v42, v1 dst_sel:DWORD dst_unused:UNUSED_PAD src0_sel:DWORD src1_sel:BYTE_1
	global_load_dwordx2 v[8:9], v8, s[4:5]
	v_bfe_u32 v1, v1, 16, 8
	global_load_dwordx2 v[43:44], v22, s[4:5] offset:2048
	v_add_f32_e32 v2, v2, v51
	s_waitcnt vmcnt(0)
	v_mul_f32_e32 v22, v9, v44
	v_mul_f32_e32 v41, v8, v44
	v_mov_b32_e32 v44, 0x1000
	v_lshl_or_b32 v1, v1, 3, v44
	v_fma_f32 v22, v8, v43, -v22
	v_fmac_f32_e32 v41, v9, v43
	global_load_dwordx2 v[8:9], v1, s[4:5]
	s_waitcnt vmcnt(0)
	v_mul_f32_e32 v1, v41, v9
	v_mul_f32_e32 v9, v22, v9
	v_fmac_f32_e32 v9, v8, v41
	v_fma_f32 v43, v8, v22, -v1
	v_mul_f32_e32 v1, v3, v9
	v_fmac_f32_e32 v1, v2, v43
	v_mul_f32_e32 v2, v2, v9
	v_add_u32_e32 v41, 12, v30
	v_fma_f32 v2, v3, v43, -v2
	v_mul_lo_u32 v3, v15, v41
	v_lshlrev_b32_sdwa v8, v42, v3 dst_sel:DWORD dst_unused:UNUSED_PAD src0_sel:DWORD src1_sel:BYTE_0
	v_lshlrev_b32_sdwa v22, v42, v3 dst_sel:DWORD dst_unused:UNUSED_PAD src0_sel:DWORD src1_sel:BYTE_1
	global_load_dwordx2 v[8:9], v8, s[4:5]
	v_bfe_u32 v3, v3, 16, 8
	global_load_dwordx2 v[49:50], v22, s[4:5] offset:2048
	v_lshl_or_b32 v3, v3, 3, v44
	s_waitcnt vmcnt(0)
	v_mul_f32_e32 v22, v9, v50
	v_mul_f32_e32 v43, v8, v50
	v_fma_f32 v22, v8, v49, -v22
	v_fmac_f32_e32 v43, v9, v49
	global_load_dwordx2 v[8:9], v3, s[4:5]
	s_waitcnt vmcnt(0)
	v_mul_f32_e32 v3, v43, v9
	v_mul_f32_e32 v9, v22, v9
	v_fmac_f32_e32 v9, v8, v43
	v_fma_f32 v45, v8, v22, -v3
	v_mul_f32_e32 v3, v5, v9
	v_fmac_f32_e32 v3, v4, v45
	v_mul_f32_e32 v4, v4, v9
	v_or_b32_e32 v43, 24, v30
	v_fma_f32 v4, v5, v45, -v4
	v_mul_lo_u32 v5, v15, v43
	v_lshlrev_b32_sdwa v8, v42, v5 dst_sel:DWORD dst_unused:UNUSED_PAD src0_sel:DWORD src1_sel:BYTE_0
	v_lshlrev_b32_sdwa v22, v42, v5 dst_sel:DWORD dst_unused:UNUSED_PAD src0_sel:DWORD src1_sel:BYTE_1
	global_load_dwordx2 v[8:9], v8, s[4:5]
	v_bfe_u32 v5, v5, 16, 8
	global_load_dwordx2 v[49:50], v22, s[4:5] offset:2048
	v_lshl_or_b32 v5, v5, 3, v44
	s_waitcnt vmcnt(0)
	v_mul_f32_e32 v22, v9, v50
	v_mul_f32_e32 v45, v8, v50
	v_fma_f32 v22, v8, v49, -v22
	v_fmac_f32_e32 v45, v9, v49
	global_load_dwordx2 v[8:9], v5, s[4:5]
	s_waitcnt vmcnt(0)
	v_mul_f32_e32 v5, v45, v9
	v_mul_f32_e32 v9, v22, v9
	v_fmac_f32_e32 v9, v8, v45
	v_fma_f32 v49, v8, v22, -v5
	v_mul_f32_e32 v5, v7, v9
	v_add_u32_e32 v45, 36, v30
	v_fmac_f32_e32 v5, v6, v49
	v_mul_f32_e32 v6, v6, v9
	v_mul_lo_u32 v9, v15, v45
	v_fma_f32 v6, v7, v49, -v6
	v_lshlrev_b32_sdwa v7, v42, v9 dst_sel:DWORD dst_unused:UNUSED_PAD src0_sel:DWORD src1_sel:BYTE_0
	v_lshlrev_b32_sdwa v22, v42, v9 dst_sel:DWORD dst_unused:UNUSED_PAD src0_sel:DWORD src1_sel:BYTE_1
	global_load_dwordx2 v[7:8], v7, s[4:5]
	s_nop 0
	global_load_dwordx2 v[49:50], v22, s[4:5] offset:2048
	s_waitcnt vmcnt(0)
	v_mul_f32_e32 v22, v8, v50
	v_fma_f32 v22, v7, v49, -v22
	v_mul_f32_e32 v50, v7, v50
	v_bfe_u32 v7, v9, 16, 8
	v_lshl_or_b32 v7, v7, 3, v44
	v_fmac_f32_e32 v50, v8, v49
	global_load_dwordx2 v[7:8], v7, s[4:5]
	s_waitcnt vmcnt(0)
	v_mul_f32_e32 v9, v50, v8
	v_mul_f32_e32 v8, v22, v8
	v_fmac_f32_e32 v8, v7, v50
	v_fma_f32 v9, v7, v22, -v9
	v_mul_f32_e32 v7, v18, v8
	v_fmac_f32_e32 v7, v46, v9
	v_mul_f32_e32 v8, v46, v8
	v_or_b32_e32 v46, 48, v30
	v_fma_f32 v8, v18, v9, -v8
	v_mul_lo_u32 v9, v15, v46
	v_lshlrev_b32_sdwa v18, v42, v9 dst_sel:DWORD dst_unused:UNUSED_PAD src0_sel:DWORD src1_sel:BYTE_0
	global_load_dwordx2 v[49:50], v18, s[4:5]
	v_lshlrev_b32_sdwa v18, v42, v9 dst_sel:DWORD dst_unused:UNUSED_PAD src0_sel:DWORD src1_sel:BYTE_1
	global_load_dwordx2 v[51:52], v18, s[4:5] offset:2048
	v_bfe_u32 v9, v9, 16, 8
	v_lshl_or_b32 v9, v9, 3, v44
	s_waitcnt vmcnt(0)
	v_mul_f32_e32 v18, v50, v52
	v_mul_f32_e32 v22, v49, v52
	v_fma_f32 v18, v49, v51, -v18
	v_fmac_f32_e32 v22, v50, v51
	global_load_dwordx2 v[49:50], v9, s[4:5]
	s_waitcnt vmcnt(0)
	v_mul_f32_e32 v9, v22, v50
	v_fma_f32 v51, v49, v18, -v9
	v_mul_f32_e32 v18, v18, v50
	v_fmac_f32_e32 v18, v49, v22
	v_mul_f32_e32 v9, v11, v18
	v_fmac_f32_e32 v9, v10, v51
	v_mul_f32_e32 v10, v10, v18
	v_fma_f32 v10, v11, v51, -v10
	v_mul_lo_u32 v11, v15, v24
	v_lshlrev_b32_sdwa v18, v42, v11 dst_sel:DWORD dst_unused:UNUSED_PAD src0_sel:DWORD src1_sel:BYTE_0
	global_load_dwordx2 v[49:50], v18, s[4:5]
	v_lshlrev_b32_sdwa v18, v42, v11 dst_sel:DWORD dst_unused:UNUSED_PAD src0_sel:DWORD src1_sel:BYTE_1
	global_load_dwordx2 v[51:52], v18, s[4:5] offset:2048
	v_bfe_u32 v11, v11, 16, 8
	v_lshl_or_b32 v11, v11, 3, v44
	s_waitcnt vmcnt(0)
	v_mul_f32_e32 v18, v50, v52
	v_mul_f32_e32 v22, v49, v52
	v_fma_f32 v18, v49, v51, -v18
	v_fmac_f32_e32 v22, v50, v51
	global_load_dwordx2 v[49:50], v11, s[4:5]
	s_waitcnt vmcnt(0)
	v_mul_f32_e32 v11, v22, v50
	v_fma_f32 v51, v49, v18, -v11
	v_mul_f32_e32 v18, v18, v50
	v_fmac_f32_e32 v18, v49, v22
	v_mul_f32_e32 v11, v16, v18
	v_fmac_f32_e32 v11, v12, v51
	v_mul_f32_e32 v12, v12, v18
	v_fma_f32 v12, v16, v51, -v12
	v_add_u32_e32 v16, 12, v24
	v_mul_lo_u32 v16, v15, v16
	v_lshlrev_b32_sdwa v18, v42, v16 dst_sel:DWORD dst_unused:UNUSED_PAD src0_sel:DWORD src1_sel:BYTE_0
	global_load_dwordx2 v[49:50], v18, s[4:5]
	v_lshlrev_b32_sdwa v18, v42, v16 dst_sel:DWORD dst_unused:UNUSED_PAD src0_sel:DWORD src1_sel:BYTE_1
	global_load_dwordx2 v[51:52], v18, s[4:5] offset:2048
	v_bfe_u32 v16, v16, 16, 8
	v_lshl_or_b32 v16, v16, 3, v44
	s_waitcnt vmcnt(0)
	v_mul_f32_e32 v18, v50, v52
	v_mul_f32_e32 v22, v49, v52
	v_fma_f32 v18, v49, v51, -v18
	v_fmac_f32_e32 v22, v50, v51
	global_load_dwordx2 v[49:50], v16, s[4:5]
	s_waitcnt vmcnt(0)
	v_mul_f32_e32 v16, v22, v50
	v_fma_f32 v51, v49, v18, -v16
	v_mul_f32_e32 v18, v18, v50
	v_fmac_f32_e32 v18, v49, v22
	v_mul_f32_e32 v16, v21, v18
	v_fmac_f32_e32 v16, v17, v51
	v_mul_f32_e32 v17, v17, v18
	v_add_u32_e32 v18, 24, v24
	v_mul_lo_u32 v18, v15, v18
	v_fma_f32 v17, v21, v51, -v17
	v_lshlrev_b32_sdwa v21, v42, v18 dst_sel:DWORD dst_unused:UNUSED_PAD src0_sel:DWORD src1_sel:BYTE_0
	v_lshlrev_b32_sdwa v49, v42, v18 dst_sel:DWORD dst_unused:UNUSED_PAD src0_sel:DWORD src1_sel:BYTE_1
	global_load_dwordx2 v[21:22], v21, s[4:5]
	v_bfe_u32 v18, v18, 16, 8
	global_load_dwordx2 v[49:50], v49, s[4:5] offset:2048
	v_lshl_or_b32 v18, v18, 3, v44
	s_waitcnt vmcnt(0)
	v_mul_f32_e32 v51, v22, v50
	v_mul_f32_e32 v50, v21, v50
	v_fma_f32 v51, v21, v49, -v51
	v_fmac_f32_e32 v50, v22, v49
	global_load_dwordx2 v[21:22], v18, s[4:5]
	s_waitcnt vmcnt(0)
	v_mul_f32_e32 v18, v50, v22
	v_mul_f32_e32 v22, v51, v22
	v_fmac_f32_e32 v22, v21, v50
	v_fma_f32 v49, v21, v51, -v18
	v_mul_f32_e32 v18, v20, v22
	v_fmac_f32_e32 v18, v19, v49
	v_mul_f32_e32 v19, v19, v22
	v_fma_f32 v19, v20, v49, -v19
	v_add_u32_e32 v20, 36, v24
	v_mul_lo_u32 v22, v15, v20
	v_lshlrev_b32_sdwa v20, v42, v22 dst_sel:DWORD dst_unused:UNUSED_PAD src0_sel:DWORD src1_sel:BYTE_0
	v_lshlrev_b32_sdwa v49, v42, v22 dst_sel:DWORD dst_unused:UNUSED_PAD src0_sel:DWORD src1_sel:BYTE_1
	global_load_dwordx2 v[20:21], v20, s[4:5]
	s_nop 0
	global_load_dwordx2 v[49:50], v49, s[4:5] offset:2048
	s_waitcnt vmcnt(0)
	v_mul_f32_e32 v51, v21, v50
	v_fma_f32 v51, v20, v49, -v51
	v_mul_f32_e32 v50, v20, v50
	v_bfe_u32 v20, v22, 16, 8
	v_lshl_or_b32 v20, v20, 3, v44
	v_fmac_f32_e32 v50, v21, v49
	global_load_dwordx2 v[20:21], v20, s[4:5]
	s_waitcnt vmcnt(0)
	v_mul_f32_e32 v22, v50, v21
	v_mul_f32_e32 v21, v51, v21
	v_fmac_f32_e32 v21, v20, v50
	v_fma_f32 v22, v20, v51, -v22
	v_mul_f32_e32 v20, v23, v21
	v_mul_f32_e32 v21, v40, v21
	v_fmac_f32_e32 v20, v40, v22
	v_fma_f32 v21, v23, v22, -v21
	v_or_b32_e32 v22, 48, v24
	v_mul_lo_u32 v24, v15, v22
	v_lshlrev_b32_sdwa v22, v42, v24 dst_sel:DWORD dst_unused:UNUSED_PAD src0_sel:DWORD src1_sel:BYTE_0
	v_lshlrev_b32_sdwa v40, v42, v24 dst_sel:DWORD dst_unused:UNUSED_PAD src0_sel:DWORD src1_sel:BYTE_1
	global_load_dwordx2 v[22:23], v22, s[4:5]
	s_nop 0
	global_load_dwordx2 v[49:50], v40, s[4:5] offset:2048
	s_waitcnt vmcnt(0)
	v_mul_f32_e32 v40, v23, v50
	v_fma_f32 v40, v22, v49, -v40
	v_mul_f32_e32 v50, v22, v50
	v_bfe_u32 v22, v24, 16, 8
	v_lshl_or_b32 v22, v22, 3, v44
	v_fmac_f32_e32 v50, v23, v49
	global_load_dwordx2 v[22:23], v22, s[4:5]
	s_waitcnt vmcnt(0)
	v_mul_f32_e32 v24, v50, v23
	v_mul_f32_e32 v23, v40, v23
	v_fmac_f32_e32 v23, v22, v50
	v_fma_f32 v24, v22, v40, -v24
	v_mul_f32_e32 v22, v48, v23
	v_mul_f32_e32 v23, v47, v23
	v_fmac_f32_e32 v22, v47, v24
	v_fma_f32 v23, v48, v24, -v23
	v_mul_lo_u32 v24, v15, v32
	v_lshlrev_b32_sdwa v40, v42, v24 dst_sel:DWORD dst_unused:UNUSED_PAD src0_sel:DWORD src1_sel:BYTE_0
	global_load_dwordx2 v[47:48], v40, s[4:5]
	v_lshlrev_b32_sdwa v40, v42, v24 dst_sel:DWORD dst_unused:UNUSED_PAD src0_sel:DWORD src1_sel:BYTE_1
	global_load_dwordx2 v[49:50], v40, s[4:5] offset:2048
	v_bfe_u32 v24, v24, 16, 8
	v_lshl_or_b32 v24, v24, 3, v44
	s_waitcnt vmcnt(0)
	v_mul_f32_e32 v40, v48, v50
	v_fma_f32 v40, v47, v49, -v40
	v_mul_f32_e32 v47, v47, v50
	v_fmac_f32_e32 v47, v48, v49
	global_load_dwordx2 v[48:49], v24, s[4:5]
	s_waitcnt vmcnt(0)
	v_mul_f32_e32 v24, v47, v49
	v_fma_f32 v50, v48, v40, -v24
	v_mul_f32_e32 v40, v40, v49
	v_fmac_f32_e32 v40, v48, v47
	v_mul_f32_e32 v24, v39, v40
	v_fmac_f32_e32 v24, v25, v50
	v_mul_f32_e32 v25, v25, v40
	v_fma_f32 v25, v39, v50, -v25
	v_add_u32_e32 v39, 12, v32
	v_mul_lo_u32 v49, v15, v39
	v_lshlrev_b32_sdwa v39, v42, v49 dst_sel:DWORD dst_unused:UNUSED_PAD src0_sel:DWORD src1_sel:BYTE_0
	v_lshlrev_b32_sdwa v47, v42, v49 dst_sel:DWORD dst_unused:UNUSED_PAD src0_sel:DWORD src1_sel:BYTE_1
	global_load_dwordx2 v[39:40], v39, s[4:5]
	s_nop 0
	global_load_dwordx2 v[47:48], v47, s[4:5] offset:2048
	s_waitcnt vmcnt(0)
	v_mul_f32_e32 v50, v40, v48
	v_fma_f32 v50, v39, v47, -v50
	v_mul_f32_e32 v48, v39, v48
	v_bfe_u32 v39, v49, 16, 8
	v_lshl_or_b32 v39, v39, 3, v44
	v_fmac_f32_e32 v48, v40, v47
	global_load_dwordx2 v[39:40], v39, s[4:5]
	s_waitcnt vmcnt(0)
	v_mul_f32_e32 v47, v48, v40
	v_mul_f32_e32 v40, v50, v40
	v_fmac_f32_e32 v40, v39, v48
	v_fma_f32 v47, v39, v50, -v47
	v_mul_f32_e32 v39, v38, v40
	v_fmac_f32_e32 v39, v37, v47
	v_mul_f32_e32 v37, v37, v40
	v_fma_f32 v40, v38, v47, -v37
	v_add_u32_e32 v37, 24, v32
	v_mul_lo_u32 v49, v15, v37
	v_lshlrev_b32_sdwa v37, v42, v49 dst_sel:DWORD dst_unused:UNUSED_PAD src0_sel:DWORD src1_sel:BYTE_0
	v_lshlrev_b32_sdwa v47, v42, v49 dst_sel:DWORD dst_unused:UNUSED_PAD src0_sel:DWORD src1_sel:BYTE_1
	global_load_dwordx2 v[37:38], v37, s[4:5]
	s_nop 0
	global_load_dwordx2 v[47:48], v47, s[4:5] offset:2048
	s_waitcnt vmcnt(0)
	v_mul_f32_e32 v50, v38, v48
	v_fma_f32 v50, v37, v47, -v50
	v_mul_f32_e32 v48, v37, v48
	v_bfe_u32 v37, v49, 16, 8
	v_lshl_or_b32 v37, v37, 3, v44
	v_fmac_f32_e32 v48, v38, v47
	global_load_dwordx2 v[37:38], v37, s[4:5]
	s_waitcnt vmcnt(0)
	v_mul_f32_e32 v47, v48, v38
	v_mul_f32_e32 v38, v50, v38
	v_fmac_f32_e32 v38, v37, v48
	v_fma_f32 v47, v37, v50, -v47
	;; [unrolled: 24-line block ×3, first 2 shown]
	v_mul_f32_e32 v35, v31, v36
	v_fmac_f32_e32 v35, v29, v47
	v_mul_f32_e32 v29, v29, v36
	v_fma_f32 v36, v31, v47, -v29
	v_or_b32_e32 v29, 48, v32
	v_mul_lo_u32 v15, v15, v29
	v_lshlrev_b32_sdwa v29, v42, v15 dst_sel:DWORD dst_unused:UNUSED_PAD src0_sel:DWORD src1_sel:BYTE_0
	global_load_dwordx2 v[31:32], v29, s[4:5]
	v_lshlrev_b32_sdwa v29, v42, v15 dst_sel:DWORD dst_unused:UNUSED_PAD src0_sel:DWORD src1_sel:BYTE_1
	global_load_dwordx2 v[47:48], v29, s[4:5] offset:2048
	v_bfe_u32 v15, v15, 16, 8
	v_lshl_or_b32 v15, v15, 3, v44
	s_waitcnt vmcnt(0)
	v_mul_f32_e32 v29, v32, v48
	v_mul_f32_e32 v42, v31, v48
	v_fma_f32 v29, v31, v47, -v29
	v_fmac_f32_e32 v42, v32, v47
	global_load_dwordx2 v[31:32], v15, s[4:5]
	s_movk_i32 s4, 0x4b
	v_cmp_lt_u32_e64 s[4:5], s4, v0
	s_or_b64 s[0:1], s[4:5], s[0:1]
	s_waitcnt vmcnt(0)
	v_mul_f32_e32 v15, v42, v32
	v_fma_f32 v15, v31, v29, -v15
	v_mul_f32_e32 v29, v29, v32
	v_fmac_f32_e32 v29, v31, v42
	v_mul_f32_e32 v31, v34, v29
	v_mul_f32_e32 v29, v33, v29
	v_fmac_f32_e32 v31, v33, v15
	v_fma_f32 v32, v34, v15, -v29
	v_mul_lo_u32 v15, s12, v30
	v_add_lshl_u32 v15, v13, v15, 3
	v_cndmask_b32_e64 v15, -1, v15, s[2:3]
	buffer_store_dwordx2 v[1:2], v15, s[8:11], s13 offen
	v_mul_lo_u32 v1, s12, v41
	v_add_lshl_u32 v1, v13, v1, 3
	v_cndmask_b32_e64 v1, -1, v1, s[2:3]
	buffer_store_dwordx2 v[3:4], v1, s[8:11], s13 offen
	v_mul_lo_u32 v1, s12, v43
	v_cndmask_b32_e64 v3, 0, 1, vcc
	v_add_lshl_u32 v1, v13, v1, 3
	v_cndmask_b32_e64 v1, -1, v1, s[2:3]
	buffer_store_dwordx2 v[5:6], v1, s[8:11], s13 offen
	v_mul_lo_u32 v1, s12, v45
	v_add_lshl_u32 v1, v13, v1, 3
	v_cndmask_b32_e64 v1, -1, v1, s[2:3]
	buffer_store_dwordx2 v[7:8], v1, s[8:11], s13 offen
	v_mul_lo_u32 v1, s12, v46
	v_add_lshl_u32 v1, v13, v1, 3
	v_cndmask_b32_e64 v1, -1, v1, s[2:3]
	buffer_store_dwordx2 v[9:10], v1, s[8:11], s13 offen
	v_mov_b32_e32 v1, 48
	v_mul_u32_u24_sdwa v1, v27, v1 dst_sel:DWORD dst_unused:UNUSED_PAD src0_sel:BYTE_1 src1_sel:DWORD
	v_or_b32_e32 v1, v1, v14
	v_mul_lo_u32 v2, s12, v1
	v_add_lshl_u32 v2, v13, v2, 3
	v_cndmask_b32_e64 v2, -1, v2, s[2:3]
	buffer_store_dwordx2 v[11:12], v2, s[8:11], s13 offen
	v_add_u32_e32 v2, 12, v1
	v_mul_lo_u32 v2, s12, v2
	v_add_lshl_u32 v2, v13, v2, 3
	v_cndmask_b32_e64 v2, -1, v2, s[2:3]
	buffer_store_dwordx2 v[16:17], v2, s[8:11], s13 offen
	v_add_u32_e32 v2, 24, v1
	;; [unrolled: 5-line block ×3, first 2 shown]
	v_add_u32_e32 v1, 48, v1
	v_mul_lo_u32 v2, s12, v2
	v_mul_lo_u32 v1, s12, v1
	v_add_lshl_u32 v2, v13, v2, 3
	v_add_lshl_u32 v1, v13, v1, 3
	v_cndmask_b32_e64 v2, -1, v2, s[2:3]
	v_cndmask_b32_e64 v1, -1, v1, s[2:3]
	buffer_store_dwordx2 v[20:21], v2, s[8:11], s13 offen
	buffer_store_dwordx2 v[22:23], v1, s[8:11], s13 offen
	v_mad_u32_u24 v1, v28, 48, v26
	s_movk_i32 s2, 0x4c
	v_mul_lo_u32 v2, s12, v1
	v_cmp_gt_u32_e64 s[2:3], s2, v0
	v_cndmask_b32_e64 v0, 0, 1, s[2:3]
	v_cndmask_b32_e64 v0, v3, v0, s[0:1]
	v_and_b32_e32 v0, 1, v0
	v_cmp_eq_u32_e32 vcc, 1, v0
	v_add_lshl_u32 v0, v13, v2, 3
	v_cndmask_b32_e32 v0, -1, v0, vcc
	buffer_store_dwordx2 v[24:25], v0, s[8:11], s13 offen
	v_add_u32_e32 v0, 12, v1
	v_mul_lo_u32 v0, s12, v0
	v_add_lshl_u32 v0, v13, v0, 3
	v_cndmask_b32_e32 v0, -1, v0, vcc
	buffer_store_dwordx2 v[39:40], v0, s[8:11], s13 offen
	v_add_u32_e32 v0, 24, v1
	v_mul_lo_u32 v0, s12, v0
	;; [unrolled: 5-line block ×4, first 2 shown]
	v_add_lshl_u32 v0, v13, v0, 3
	v_cndmask_b32_e32 v0, -1, v0, vcc
	buffer_store_dwordx2 v[31:32], v0, s[8:11], s13 offen
	s_endpgm
	.section	.rodata,"a",@progbits
	.p2align	6, 0x0
	.amdhsa_kernel fft_rtc_back_len60_factors_3_4_5_wgs_190_tpt_5_halfLds_dim2_sp_ip_CI_sbcc_twdbase8_3step_dirReg_intrinsicReadWrite
		.amdhsa_group_segment_fixed_size 0
		.amdhsa_private_segment_fixed_size 0
		.amdhsa_kernarg_size 88
		.amdhsa_user_sgpr_count 6
		.amdhsa_user_sgpr_private_segment_buffer 1
		.amdhsa_user_sgpr_dispatch_ptr 0
		.amdhsa_user_sgpr_queue_ptr 0
		.amdhsa_user_sgpr_kernarg_segment_ptr 1
		.amdhsa_user_sgpr_dispatch_id 0
		.amdhsa_user_sgpr_flat_scratch_init 0
		.amdhsa_user_sgpr_private_segment_size 0
		.amdhsa_uses_dynamic_stack 0
		.amdhsa_system_sgpr_private_segment_wavefront_offset 0
		.amdhsa_system_sgpr_workgroup_id_x 1
		.amdhsa_system_sgpr_workgroup_id_y 0
		.amdhsa_system_sgpr_workgroup_id_z 0
		.amdhsa_system_sgpr_workgroup_info 0
		.amdhsa_system_vgpr_workitem_id 0
		.amdhsa_next_free_vgpr 58
		.amdhsa_next_free_sgpr 23
		.amdhsa_reserve_vcc 1
		.amdhsa_reserve_flat_scratch 0
		.amdhsa_float_round_mode_32 0
		.amdhsa_float_round_mode_16_64 0
		.amdhsa_float_denorm_mode_32 3
		.amdhsa_float_denorm_mode_16_64 3
		.amdhsa_dx10_clamp 1
		.amdhsa_ieee_mode 1
		.amdhsa_fp16_overflow 0
		.amdhsa_exception_fp_ieee_invalid_op 0
		.amdhsa_exception_fp_denorm_src 0
		.amdhsa_exception_fp_ieee_div_zero 0
		.amdhsa_exception_fp_ieee_overflow 0
		.amdhsa_exception_fp_ieee_underflow 0
		.amdhsa_exception_fp_ieee_inexact 0
		.amdhsa_exception_int_div_zero 0
	.end_amdhsa_kernel
	.text
.Lfunc_end0:
	.size	fft_rtc_back_len60_factors_3_4_5_wgs_190_tpt_5_halfLds_dim2_sp_ip_CI_sbcc_twdbase8_3step_dirReg_intrinsicReadWrite, .Lfunc_end0-fft_rtc_back_len60_factors_3_4_5_wgs_190_tpt_5_halfLds_dim2_sp_ip_CI_sbcc_twdbase8_3step_dirReg_intrinsicReadWrite
                                        ; -- End function
	.section	.AMDGPU.csdata,"",@progbits
; Kernel info:
; codeLenInByte = 7072
; NumSgprs: 27
; NumVgprs: 58
; ScratchSize: 0
; MemoryBound: 0
; FloatMode: 240
; IeeeMode: 1
; LDSByteSize: 0 bytes/workgroup (compile time only)
; SGPRBlocks: 3
; VGPRBlocks: 14
; NumSGPRsForWavesPerEU: 27
; NumVGPRsForWavesPerEU: 58
; Occupancy: 4
; WaveLimiterHint : 0
; COMPUTE_PGM_RSRC2:SCRATCH_EN: 0
; COMPUTE_PGM_RSRC2:USER_SGPR: 6
; COMPUTE_PGM_RSRC2:TRAP_HANDLER: 0
; COMPUTE_PGM_RSRC2:TGID_X_EN: 1
; COMPUTE_PGM_RSRC2:TGID_Y_EN: 0
; COMPUTE_PGM_RSRC2:TGID_Z_EN: 0
; COMPUTE_PGM_RSRC2:TIDIG_COMP_CNT: 0
	.type	__hip_cuid_7058118b69f96dcd,@object ; @__hip_cuid_7058118b69f96dcd
	.section	.bss,"aw",@nobits
	.globl	__hip_cuid_7058118b69f96dcd
__hip_cuid_7058118b69f96dcd:
	.byte	0                               ; 0x0
	.size	__hip_cuid_7058118b69f96dcd, 1

	.ident	"AMD clang version 19.0.0git (https://github.com/RadeonOpenCompute/llvm-project roc-6.4.0 25133 c7fe45cf4b819c5991fe208aaa96edf142730f1d)"
	.section	".note.GNU-stack","",@progbits
	.addrsig
	.addrsig_sym __hip_cuid_7058118b69f96dcd
	.amdgpu_metadata
---
amdhsa.kernels:
  - .args:
      - .actual_access:  read_only
        .address_space:  global
        .offset:         0
        .size:           8
        .value_kind:     global_buffer
      - .address_space:  global
        .offset:         8
        .size:           8
        .value_kind:     global_buffer
      - .actual_access:  read_only
        .address_space:  global
        .offset:         16
        .size:           8
        .value_kind:     global_buffer
      - .actual_access:  read_only
        .address_space:  global
        .offset:         24
        .size:           8
        .value_kind:     global_buffer
      - .offset:         32
        .size:           8
        .value_kind:     by_value
      - .actual_access:  read_only
        .address_space:  global
        .offset:         40
        .size:           8
        .value_kind:     global_buffer
      - .actual_access:  read_only
        .address_space:  global
        .offset:         48
        .size:           8
        .value_kind:     global_buffer
      - .offset:         56
        .size:           4
        .value_kind:     by_value
      - .actual_access:  read_only
        .address_space:  global
        .offset:         64
        .size:           8
        .value_kind:     global_buffer
      - .actual_access:  read_only
        .address_space:  global
        .offset:         72
        .size:           8
        .value_kind:     global_buffer
      - .address_space:  global
        .offset:         80
        .size:           8
        .value_kind:     global_buffer
    .group_segment_fixed_size: 0
    .kernarg_segment_align: 8
    .kernarg_segment_size: 88
    .language:       OpenCL C
    .language_version:
      - 2
      - 0
    .max_flat_workgroup_size: 190
    .name:           fft_rtc_back_len60_factors_3_4_5_wgs_190_tpt_5_halfLds_dim2_sp_ip_CI_sbcc_twdbase8_3step_dirReg_intrinsicReadWrite
    .private_segment_fixed_size: 0
    .sgpr_count:     27
    .sgpr_spill_count: 0
    .symbol:         fft_rtc_back_len60_factors_3_4_5_wgs_190_tpt_5_halfLds_dim2_sp_ip_CI_sbcc_twdbase8_3step_dirReg_intrinsicReadWrite.kd
    .uniform_work_group_size: 1
    .uses_dynamic_stack: false
    .vgpr_count:     58
    .vgpr_spill_count: 0
    .wavefront_size: 64
amdhsa.target:   amdgcn-amd-amdhsa--gfx906
amdhsa.version:
  - 1
  - 2
...

	.end_amdgpu_metadata
